;; amdgpu-corpus repo=ROCm/rocFFT kind=compiled arch=gfx906 opt=O3
	.text
	.amdgcn_target "amdgcn-amd-amdhsa--gfx906"
	.amdhsa_code_object_version 6
	.protected	fft_rtc_fwd_len200_factors_5_8_5_wgs_400_tpt_40_half_ip_CI_sbcc_twdbase8_3step_dirReg_intrinsicReadWrite ; -- Begin function fft_rtc_fwd_len200_factors_5_8_5_wgs_400_tpt_40_half_ip_CI_sbcc_twdbase8_3step_dirReg_intrinsicReadWrite
	.globl	fft_rtc_fwd_len200_factors_5_8_5_wgs_400_tpt_40_half_ip_CI_sbcc_twdbase8_3step_dirReg_intrinsicReadWrite
	.p2align	8
	.type	fft_rtc_fwd_len200_factors_5_8_5_wgs_400_tpt_40_half_ip_CI_sbcc_twdbase8_3step_dirReg_intrinsicReadWrite,@function
fft_rtc_fwd_len200_factors_5_8_5_wgs_400_tpt_40_half_ip_CI_sbcc_twdbase8_3step_dirReg_intrinsicReadWrite: ; @fft_rtc_fwd_len200_factors_5_8_5_wgs_400_tpt_40_half_ip_CI_sbcc_twdbase8_3step_dirReg_intrinsicReadWrite
; %bb.0:
	s_load_dwordx4 s[0:3], s[4:5], 0x18
	s_mov_b32 s7, 0
	s_mov_b64 s[24:25], 0
	s_waitcnt lgkmcnt(0)
	s_load_dwordx2 s[10:11], s[0:1], 0x8
	s_waitcnt lgkmcnt(0)
	s_add_u32 s8, s10, -1
	s_addc_u32 s9, s11, -1
	s_add_u32 s12, 0, 0x99986000
	s_addc_u32 s13, 0, 0x59
	s_mul_hi_u32 s15, s12, -10
	s_add_i32 s13, s13, 0x19999940
	s_sub_i32 s15, s15, s12
	s_mul_i32 s18, s13, -10
	s_mul_i32 s14, s12, -10
	s_add_i32 s15, s15, s18
	s_mul_hi_u32 s16, s13, s14
	s_mul_i32 s17, s13, s14
	s_mul_i32 s19, s12, s15
	s_mul_hi_u32 s14, s12, s14
	s_mul_hi_u32 s18, s12, s15
	s_add_u32 s14, s14, s19
	s_addc_u32 s18, 0, s18
	s_add_u32 s14, s14, s17
	s_mul_hi_u32 s19, s13, s15
	s_addc_u32 s14, s18, s16
	s_addc_u32 s16, s19, 0
	s_mul_i32 s15, s13, s15
	s_add_u32 s14, s14, s15
	v_mov_b32_e32 v1, s14
	s_addc_u32 s15, 0, s16
	v_add_co_u32_e32 v1, vcc, s12, v1
	s_cmp_lg_u64 vcc, 0
	s_addc_u32 s12, s13, s15
	v_readfirstlane_b32 s15, v1
	s_mul_i32 s14, s8, s12
	s_mul_hi_u32 s16, s8, s15
	s_mul_hi_u32 s13, s8, s12
	s_add_u32 s14, s16, s14
	s_addc_u32 s13, 0, s13
	s_mul_hi_u32 s17, s9, s15
	s_mul_i32 s15, s9, s15
	s_add_u32 s14, s14, s15
	s_mul_hi_u32 s16, s9, s12
	s_addc_u32 s13, s13, s17
	s_addc_u32 s14, s16, 0
	s_mul_i32 s12, s9, s12
	s_add_u32 s12, s13, s12
	s_addc_u32 s13, 0, s14
	s_add_u32 s14, s12, 1
	s_addc_u32 s15, s13, 0
	s_add_u32 s16, s12, 2
	s_mul_i32 s18, s13, 10
	s_mul_hi_u32 s19, s12, 10
	s_addc_u32 s17, s13, 0
	s_add_i32 s19, s19, s18
	s_mul_i32 s18, s12, 10
	v_mov_b32_e32 v1, s18
	v_sub_co_u32_e32 v1, vcc, s8, v1
	s_cmp_lg_u64 vcc, 0
	s_subb_u32 s8, s9, s19
	v_subrev_co_u32_e32 v2, vcc, 10, v1
	s_cmp_lg_u64 vcc, 0
	s_subb_u32 s9, s8, 0
	v_readfirstlane_b32 s18, v2
	s_cmp_gt_u32 s18, 9
	s_cselect_b32 s18, -1, 0
	s_cmp_eq_u32 s9, 0
	s_cselect_b32 s9, s18, -1
	s_cmp_lg_u32 s9, 0
	s_cselect_b32 s9, s16, s14
	s_cselect_b32 s14, s17, s15
	v_readfirstlane_b32 s15, v1
	s_cmp_gt_u32 s15, 9
	s_cselect_b32 s15, -1, 0
	s_cmp_eq_u32 s8, 0
	s_cselect_b32 s8, s15, -1
	s_cmp_lg_u32 s8, 0
	s_cselect_b32 s9, s9, s12
	s_cselect_b32 s8, s14, s13
	s_add_u32 s22, s9, 1
	s_addc_u32 s23, s8, 0
	v_mov_b32_e32 v1, s22
	v_mov_b32_e32 v2, s23
	v_cmp_lt_u64_e32 vcc, s[6:7], v[1:2]
	s_cbranch_vccnz .LBB0_2
; %bb.1:
	v_cvt_f32_u32_e32 v1, s22
	s_sub_i32 s8, 0, s22
	s_mov_b32 s25, s7
	v_rcp_iflag_f32_e32 v1, v1
	v_mul_f32_e32 v1, 0x4f7ffffe, v1
	v_cvt_u32_f32_e32 v1, v1
	v_readfirstlane_b32 s9, v1
	s_mul_i32 s8, s8, s9
	s_mul_hi_u32 s8, s9, s8
	s_add_i32 s9, s9, s8
	s_mul_hi_u32 s8, s6, s9
	s_mul_i32 s12, s8, s22
	s_sub_i32 s12, s6, s12
	s_add_i32 s9, s8, 1
	s_sub_i32 s13, s12, s22
	s_cmp_ge_u32 s12, s22
	s_cselect_b32 s8, s9, s8
	s_cselect_b32 s12, s13, s12
	s_add_i32 s9, s8, 1
	s_cmp_ge_u32 s12, s22
	s_cselect_b32 s24, s9, s8
.LBB0_2:
	s_load_dwordx2 s[8:9], s[4:5], 0x58
	s_load_dwordx4 s[12:15], s[2:3], 0x0
	s_load_dwordx2 s[20:21], s[4:5], 0x0
	s_load_dwordx4 s[16:19], s[4:5], 0x8
	s_mul_i32 s4, s24, s23
	s_mul_hi_u32 s5, s24, s22
	s_add_i32 s5, s5, s4
	s_mul_i32 s4, s24, s22
	s_sub_u32 s33, s6, s4
	s_subb_u32 s4, 0, s5
	s_mul_i32 s4, s4, 10
	s_waitcnt lgkmcnt(0)
	s_mul_hi_u32 s13, s33, 10
	s_add_i32 s13, s13, s4
	s_mul_i32 s33, s33, 10
	s_mul_i32 s4, s14, s13
	s_mul_hi_u32 s5, s14, s33
	s_add_i32 s4, s5, s4
	s_mul_i32 s5, s15, s33
	s_add_i32 s38, s4, s5
	v_cmp_lt_u64_e64 s[4:5], s[18:19], 3
	s_mul_i32 s15, s14, s33
	s_and_b64 vcc, exec, s[4:5]
	s_cbranch_vccnz .LBB0_10
; %bb.3:
	s_add_u32 s4, s2, 16
	s_addc_u32 s5, s3, 0
	s_add_u32 s26, s0, 16
	v_mov_b32_e32 v1, s18
	s_addc_u32 s27, s1, 0
	s_mov_b64 s[28:29], 2
	s_mov_b32 s30, 0
	v_mov_b32_e32 v2, s19
.LBB0_4:                                ; =>This Inner Loop Header: Depth=1
	s_load_dwordx2 s[34:35], s[26:27], 0x0
	s_waitcnt lgkmcnt(0)
	s_or_b64 s[0:1], s[24:25], s[34:35]
	s_mov_b32 s31, s1
	s_cmp_lg_u64 s[30:31], 0
	s_cbranch_scc0 .LBB0_9
; %bb.5:                                ;   in Loop: Header=BB0_4 Depth=1
	v_cvt_f32_u32_e32 v3, s34
	v_cvt_f32_u32_e32 v4, s35
	s_sub_u32 s0, 0, s34
	s_subb_u32 s1, 0, s35
	v_mac_f32_e32 v3, 0x4f800000, v4
	v_rcp_f32_e32 v3, v3
	v_mul_f32_e32 v3, 0x5f7ffffc, v3
	v_mul_f32_e32 v4, 0x2f800000, v3
	v_trunc_f32_e32 v4, v4
	v_mac_f32_e32 v3, 0xcf800000, v4
	v_cvt_u32_f32_e32 v4, v4
	v_cvt_u32_f32_e32 v3, v3
	v_readfirstlane_b32 s31, v4
	v_readfirstlane_b32 s36, v3
	s_mul_i32 s37, s0, s31
	s_mul_hi_u32 s40, s0, s36
	s_mul_i32 s39, s1, s36
	s_add_i32 s37, s40, s37
	s_mul_i32 s41, s0, s36
	s_add_i32 s37, s37, s39
	s_mul_hi_u32 s39, s36, s37
	s_mul_i32 s40, s36, s37
	s_mul_hi_u32 s36, s36, s41
	s_add_u32 s36, s36, s40
	s_addc_u32 s39, 0, s39
	s_mul_hi_u32 s42, s31, s41
	s_mul_i32 s41, s31, s41
	s_add_u32 s36, s36, s41
	s_mul_hi_u32 s40, s31, s37
	s_addc_u32 s36, s39, s42
	s_addc_u32 s39, s40, 0
	s_mul_i32 s37, s31, s37
	s_add_u32 s36, s36, s37
	s_addc_u32 s37, 0, s39
	v_add_co_u32_e32 v3, vcc, s36, v3
	s_cmp_lg_u64 vcc, 0
	s_addc_u32 s31, s31, s37
	v_readfirstlane_b32 s37, v3
	s_mul_i32 s36, s0, s31
	s_mul_hi_u32 s39, s0, s37
	s_add_i32 s36, s39, s36
	s_mul_i32 s1, s1, s37
	s_add_i32 s36, s36, s1
	s_mul_i32 s0, s0, s37
	s_mul_hi_u32 s39, s31, s0
	s_mul_i32 s40, s31, s0
	s_mul_i32 s42, s37, s36
	s_mul_hi_u32 s0, s37, s0
	s_mul_hi_u32 s41, s37, s36
	s_add_u32 s0, s0, s42
	s_addc_u32 s37, 0, s41
	s_add_u32 s0, s0, s40
	s_mul_hi_u32 s1, s31, s36
	s_addc_u32 s0, s37, s39
	s_addc_u32 s1, s1, 0
	s_mul_i32 s36, s31, s36
	s_add_u32 s0, s0, s36
	s_addc_u32 s1, 0, s1
	v_add_co_u32_e32 v3, vcc, s0, v3
	s_cmp_lg_u64 vcc, 0
	s_addc_u32 s0, s31, s1
	v_readfirstlane_b32 s36, v3
	s_mul_i32 s31, s24, s0
	s_mul_hi_u32 s37, s24, s36
	s_mul_hi_u32 s1, s24, s0
	s_add_u32 s31, s37, s31
	s_addc_u32 s1, 0, s1
	s_mul_hi_u32 s39, s25, s36
	s_mul_i32 s36, s25, s36
	s_add_u32 s31, s31, s36
	s_mul_hi_u32 s37, s25, s0
	s_addc_u32 s1, s1, s39
	s_addc_u32 s31, s37, 0
	s_mul_i32 s0, s25, s0
	s_add_u32 s36, s1, s0
	s_addc_u32 s31, 0, s31
	s_mul_i32 s0, s34, s31
	s_mul_hi_u32 s1, s34, s36
	s_add_i32 s0, s1, s0
	s_mul_i32 s1, s35, s36
	s_add_i32 s37, s0, s1
	s_mul_i32 s1, s34, s36
	v_mov_b32_e32 v3, s1
	s_sub_i32 s0, s25, s37
	v_sub_co_u32_e32 v3, vcc, s24, v3
	s_cmp_lg_u64 vcc, 0
	s_subb_u32 s39, s0, s35
	v_subrev_co_u32_e64 v4, s[0:1], s34, v3
	s_cmp_lg_u64 s[0:1], 0
	s_subb_u32 s0, s39, 0
	s_cmp_ge_u32 s0, s35
	v_readfirstlane_b32 s39, v4
	s_cselect_b32 s1, -1, 0
	s_cmp_ge_u32 s39, s34
	s_cselect_b32 s39, -1, 0
	s_cmp_eq_u32 s0, s35
	s_cselect_b32 s0, s39, s1
	s_add_u32 s1, s36, 1
	s_addc_u32 s39, s31, 0
	s_add_u32 s40, s36, 2
	s_addc_u32 s41, s31, 0
	s_cmp_lg_u32 s0, 0
	s_cselect_b32 s0, s40, s1
	s_cselect_b32 s1, s41, s39
	s_cmp_lg_u64 vcc, 0
	s_subb_u32 s37, s25, s37
	s_cmp_ge_u32 s37, s35
	v_readfirstlane_b32 s40, v3
	s_cselect_b32 s39, -1, 0
	s_cmp_ge_u32 s40, s34
	s_cselect_b32 s40, -1, 0
	s_cmp_eq_u32 s37, s35
	s_cselect_b32 s37, s40, s39
	s_cmp_lg_u32 s37, 0
	s_cselect_b32 s1, s1, s31
	s_cselect_b32 s0, s0, s36
	s_cbranch_execnz .LBB0_7
.LBB0_6:                                ;   in Loop: Header=BB0_4 Depth=1
	v_cvt_f32_u32_e32 v3, s34
	s_sub_i32 s0, 0, s34
	v_rcp_iflag_f32_e32 v3, v3
	v_mul_f32_e32 v3, 0x4f7ffffe, v3
	v_cvt_u32_f32_e32 v3, v3
	v_readfirstlane_b32 s1, v3
	s_mul_i32 s0, s0, s1
	s_mul_hi_u32 s0, s1, s0
	s_add_i32 s1, s1, s0
	s_mul_hi_u32 s0, s24, s1
	s_mul_i32 s31, s0, s34
	s_sub_i32 s31, s24, s31
	s_add_i32 s1, s0, 1
	s_sub_i32 s36, s31, s34
	s_cmp_ge_u32 s31, s34
	s_cselect_b32 s0, s1, s0
	s_cselect_b32 s31, s36, s31
	s_add_i32 s1, s0, 1
	s_cmp_ge_u32 s31, s34
	s_cselect_b32 s0, s1, s0
	s_mov_b32 s1, s30
.LBB0_7:                                ;   in Loop: Header=BB0_4 Depth=1
	s_mul_i32 s23, s34, s23
	s_mul_hi_u32 s31, s34, s22
	s_add_i32 s23, s31, s23
	s_mul_i32 s31, s35, s22
	s_add_i32 s23, s23, s31
	s_mul_i32 s31, s0, s35
	s_mul_hi_u32 s35, s0, s34
	s_load_dwordx2 s[36:37], s[4:5], 0x0
	s_add_i32 s31, s35, s31
	s_mul_i32 s35, s1, s34
	s_mul_i32 s22, s34, s22
	s_add_i32 s31, s31, s35
	s_mul_i32 s34, s0, s34
	s_sub_u32 s24, s24, s34
	s_subb_u32 s25, s25, s31
	s_waitcnt lgkmcnt(0)
	s_mul_i32 s25, s36, s25
	s_mul_hi_u32 s31, s36, s24
	s_add_i32 s25, s31, s25
	s_mul_i32 s31, s37, s24
	s_add_i32 s25, s25, s31
	s_mul_i32 s24, s36, s24
	s_add_u32 s15, s24, s15
	s_addc_u32 s38, s25, s38
	s_add_u32 s28, s28, 1
	s_addc_u32 s29, s29, 0
	;; [unrolled: 2-line block ×3, first 2 shown]
	v_cmp_ge_u64_e32 vcc, s[28:29], v[1:2]
	s_add_u32 s26, s26, 8
	s_addc_u32 s27, s27, 0
	s_cbranch_vccnz .LBB0_11
; %bb.8:                                ;   in Loop: Header=BB0_4 Depth=1
	s_mov_b64 s[24:25], s[0:1]
	s_branch .LBB0_4
.LBB0_9:                                ;   in Loop: Header=BB0_4 Depth=1
                                        ; implicit-def: $sgpr0_sgpr1
	s_branch .LBB0_6
.LBB0_10:
	v_mov_b32_e32 v1, s24
	v_mov_b32_e32 v2, s25
	s_branch .LBB0_13
.LBB0_11:
	v_mov_b32_e32 v1, s22
	v_mov_b32_e32 v2, s23
	v_cmp_lt_u64_e32 vcc, s[6:7], v[1:2]
	v_mov_b32_e32 v1, 0
	v_mov_b32_e32 v2, 0
	s_cbranch_vccnz .LBB0_13
; %bb.12:
	v_cvt_f32_u32_e32 v1, s22
	s_sub_i32 s0, 0, s22
	v_rcp_iflag_f32_e32 v1, v1
	v_mul_f32_e32 v1, 0x4f7ffffe, v1
	v_cvt_u32_f32_e32 v1, v1
	v_mul_lo_u32 v2, s0, v1
	v_mul_hi_u32 v2, v1, v2
	v_add_u32_e32 v1, v1, v2
	v_mul_hi_u32 v1, s6, v1
	v_mul_lo_u32 v2, v1, s22
	v_add_u32_e32 v3, 1, v1
	v_sub_u32_e32 v2, s6, v2
	v_subrev_u32_e32 v4, s22, v2
	v_cmp_le_u32_e32 vcc, s22, v2
	v_cndmask_b32_e32 v2, v2, v4, vcc
	v_cndmask_b32_e32 v1, v1, v3, vcc
	v_add_u32_e32 v3, 1, v1
	v_cmp_le_u32_e32 vcc, s22, v2
	v_cndmask_b32_e32 v1, v1, v3, vcc
.LBB0_13:
	s_lshl_b64 s[0:1], s[18:19], 3
	s_add_u32 s0, s2, s0
	s_addc_u32 s1, s3, s1
	s_load_dword s0, s[0:1], 0x0
	v_mul_u32_u24_e32 v2, 0x199a, v0
	v_lshrrev_b32_e32 v12, 16, v2
	v_mul_lo_u16_e32 v2, 10, v12
	v_sub_u16_e32 v8, v0, v2
	s_waitcnt lgkmcnt(0)
	v_mul_lo_u32 v1, s0, v1
	v_mov_b32_e32 v4, s13
	v_add_co_u32_e32 v3, vcc, s33, v8
	v_add_u32_e32 v7, s15, v1
	v_mad_u64_u32 v[1:2], s[2:3], s14, v8, 0
	v_mul_lo_u32 v2, s12, v12
	s_add_u32 s0, s33, 10
	v_mov_b32_e32 v5, s10
	v_addc_co_u32_e32 v4, vcc, 0, v4, vcc
	s_addc_u32 s1, s13, 0
	v_mov_b32_e32 v6, s11
	v_cmp_le_u64_e32 vcc, s[0:1], v[5:6]
	v_add_u32_e32 v6, 0x50, v12
	v_cmp_gt_u64_e64 s[0:1], s[10:11], v[3:4]
	v_add_lshl_u32 v4, v1, v2, 2
	v_lshlrev_b32_e32 v2, 2, v7
	v_add_u32_e32 v5, 40, v12
	v_mul_lo_u32 v6, s12, v6
	v_add_u32_e32 v7, 0x78, v12
	v_add_u32_e32 v9, 0xa0, v12
	v_mul_lo_u32 v5, s12, v5
	v_mul_lo_u32 v7, s12, v7
	;; [unrolled: 1-line block ×3, first 2 shown]
	s_or_b64 vcc, vcc, s[0:1]
	v_add_lshl_u32 v6, v1, v6, 2
	s_mov_b32 s11, 0x20000
	s_mov_b32 s10, -2
	v_readfirstlane_b32 s0, v2
	v_add_lshl_u32 v5, v1, v5, 2
	v_cndmask_b32_e32 v6, -1, v6, vcc
	v_add_lshl_u32 v7, v1, v7, 2
	v_add_lshl_u32 v9, v1, v9, 2
	v_cndmask_b32_e32 v4, -1, v4, vcc
	v_cndmask_b32_e32 v5, -1, v5, vcc
	v_cndmask_b32_e32 v7, -1, v7, vcc
	v_cndmask_b32_e32 v9, -1, v9, vcc
	buffer_load_dword v13, v6, s[8:11], s0 offen
	buffer_load_dword v14, v7, s[8:11], s0 offen
	;; [unrolled: 1-line block ×5, first 2 shown]
	s_movk_i32 s0, 0x3b9c
	s_mov_b32 s3, 0xbb9c
	s_movk_i32 s1, 0x38b4
	s_mov_b32 s4, 0xb8b4
	s_movk_i32 s2, 0x34f2
	s_waitcnt vmcnt(3)
	v_add_f16_e32 v4, v13, v14
	v_add_f16_sdwa v20, v13, v14 dst_sel:DWORD dst_unused:UNUSED_PAD src0_sel:WORD_1 src1_sel:WORD_1
	s_waitcnt vmcnt(1)
	v_add_f16_e32 v11, v16, v15
	s_waitcnt vmcnt(0)
	v_pk_add_f16 v19, v10, v16
	v_lshrrev_b32_e32 v21, 16, v10
	v_sub_f16_sdwa v5, v16, v15 dst_sel:DWORD dst_unused:UNUSED_PAD src0_sel:WORD_1 src1_sel:WORD_1
	v_sub_f16_sdwa v6, v13, v14 dst_sel:DWORD dst_unused:UNUSED_PAD src0_sel:WORD_1 src1_sel:WORD_1
	v_sub_f16_e32 v7, v15, v14
	v_sub_f16_e32 v9, v16, v13
	;; [unrolled: 1-line block ×5, first 2 shown]
	v_sub_f16_sdwa v23, v16, v13 dst_sel:DWORD dst_unused:UNUSED_PAD src0_sel:WORD_1 src1_sel:WORD_1
	v_sub_f16_sdwa v24, v15, v14 dst_sel:DWORD dst_unused:UNUSED_PAD src0_sel:WORD_1 src1_sel:WORD_1
	v_add_f16_sdwa v25, v16, v15 dst_sel:DWORD dst_unused:UNUSED_PAD src0_sel:WORD_1 src1_sel:WORD_1
	v_fma_f16 v11, v11, -0.5, v10
	v_fma_f16 v4, v4, -0.5, v10
	;; [unrolled: 1-line block ×3, first 2 shown]
	v_pk_add_f16 v19, v19, v13
	v_sub_f16_e32 v26, v13, v14
	v_add_f16_e32 v17, v18, v17
	v_add_f16_e32 v7, v9, v7
	;; [unrolled: 1-line block ×3, first 2 shown]
	v_fma_f16 v18, v25, -0.5, v21
	v_fma_f16 v20, v6, s3, v11
	v_fma_f16 v11, v6, s0, v11
	;; [unrolled: 1-line block ×4, first 2 shown]
	v_pk_add_f16 v19, v19, v14
	v_fma_f16 v23, v22, s3, v10
	v_fma_f16 v10, v22, s0, v10
	;; [unrolled: 1-line block ×6, first 2 shown]
	v_pk_add_f16 v4, v19, v15
	v_fma_f16 v19, v26, s4, v23
	v_fma_f16 v23, v26, s1, v10
	;; [unrolled: 1-line block ×9, first 2 shown]
	v_sub_f16_sdwa v9, v13, v16 dst_sel:DWORD dst_unused:UNUSED_PAD src0_sel:WORD_1 src1_sel:WORD_1
	v_sub_f16_sdwa v13, v14, v15 dst_sel:DWORD dst_unused:UNUSED_PAD src0_sel:WORD_1 src1_sel:WORD_1
	v_fma_f16 v7, v22, s4, v7
	v_add_f16_e32 v9, v9, v13
	v_fma_f16 v21, v9, s2, v7
	v_fma_f16 v7, v26, s3, v18
	;; [unrolled: 1-line block ×3, first 2 shown]
	s_movk_i32 s0, 0xc8
	v_fma_f16 v22, v9, s2, v7
	v_mad_u32_u24 v7, v12, s0, 0
	v_lshl_add_u32 v9, v8, 2, v7
	v_pack_b32_f16 v13, v5, v19
	ds_write2_b32 v9, v4, v13 offset1:10
	v_pack_b32_f16 v13, v10, v21
	v_pack_b32_f16 v14, v11, v22
	ds_write2_b32 v9, v13, v14 offset0:20 offset1:30
	v_pack_b32_f16 v13, v6, v20
	s_movk_i32 s0, 0xfa
	ds_write_b32 v9, v13 offset:160
	v_cmp_gt_u32_e64 s[0:1], s0, v0
	v_lshlrev_b32_e32 v13, 2, v8
	s_waitcnt lgkmcnt(0)
	s_barrier
	s_waitcnt lgkmcnt(0)
                                        ; implicit-def: $vgpr17
                                        ; implicit-def: $vgpr9
                                        ; implicit-def: $vgpr18
                                        ; implicit-def: $vgpr16
	s_and_saveexec_b64 s[2:3], s[0:1]
	s_cbranch_execz .LBB0_15
; %bb.14:
	v_mul_i32_i24_e32 v4, 0xffffff60, v12
	v_add3_u32 v8, v7, v4, v13
	v_add_u32_e32 v6, 0x7c0, v8
	ds_read2_b32 v[4:5], v8 offset1:250
	ds_read2_b32 v[10:11], v6 offset0:4 offset1:254
	v_add_u32_e32 v6, 0xfa0, v8
	v_add_u32_e32 v8, 0x1760, v8
	ds_read2_b32 v[6:7], v6 offset1:250
	ds_read2_b32 v[8:9], v8 offset0:4 offset1:254
	s_waitcnt lgkmcnt(3)
	v_lshrrev_b32_e32 v19, 16, v5
	s_waitcnt lgkmcnt(2)
	v_lshrrev_b32_e32 v21, 16, v10
	v_lshrrev_b32_e32 v22, 16, v11
	s_waitcnt lgkmcnt(1)
	v_lshrrev_b32_e32 v20, 16, v6
	;; [unrolled: 3-line block ×3, first 2 shown]
	v_lshrrev_b32_e32 v17, 16, v9
.LBB0_15:
	s_or_b64 exec, exec, s[2:3]
	s_barrier
	s_and_saveexec_b64 s[2:3], s[0:1]
	s_cbranch_execz .LBB0_17
; %bb.16:
	v_mul_lo_u16_e32 v14, 52, v12
	v_mov_b32_e32 v15, 5
	v_mul_lo_u16_sdwa v15, v14, v15 dst_sel:DWORD dst_unused:UNUSED_PAD src0_sel:BYTE_1 src1_sel:DWORD
	v_sub_u16_e32 v15, v12, v15
	v_mov_b32_e32 v23, 7
	v_mul_u32_u24_sdwa v23, v15, v23 dst_sel:DWORD dst_unused:UNUSED_PAD src0_sel:BYTE_0 src1_sel:DWORD
	v_lshlrev_b32_e32 v27, 2, v23
	global_load_dwordx4 v[23:26], v27, s[20:21]
	s_movk_i32 s0, 0x39a8
	s_mov_b32 s1, 0xb9a8
	s_waitcnt vmcnt(0)
	v_mul_f16_sdwa v29, v21, v24 dst_sel:DWORD dst_unused:UNUSED_PAD src0_sel:DWORD src1_sel:WORD_1
	v_mul_f16_sdwa v28, v22, v25 dst_sel:DWORD dst_unused:UNUSED_PAD src0_sel:DWORD src1_sel:WORD_1
	v_fma_f16 v29, v10, v24, -v29
	v_mul_f16_sdwa v10, v10, v24 dst_sel:DWORD dst_unused:UNUSED_PAD src0_sel:DWORD src1_sel:WORD_1
	v_fma_f16 v28, v11, v25, -v28
	v_mul_f16_sdwa v11, v11, v25 dst_sel:DWORD dst_unused:UNUSED_PAD src0_sel:DWORD src1_sel:WORD_1
	v_fma_f16 v10, v21, v24, v10
	v_mul_f16_sdwa v21, v6, v26 dst_sel:DWORD dst_unused:UNUSED_PAD src0_sel:DWORD src1_sel:WORD_1
	v_fma_f16 v11, v22, v25, v11
	v_fma_f16 v22, v20, v26, v21
	v_mul_f16_sdwa v21, v5, v23 dst_sel:DWORD dst_unused:UNUSED_PAD src0_sel:DWORD src1_sel:WORD_1
	v_mul_f16_sdwa v20, v20, v26 dst_sel:DWORD dst_unused:UNUSED_PAD src0_sel:DWORD src1_sel:WORD_1
	v_fma_f16 v24, v19, v23, v21
	v_mul_f16_sdwa v19, v19, v23 dst_sel:DWORD dst_unused:UNUSED_PAD src0_sel:DWORD src1_sel:WORD_1
	v_fma_f16 v6, v6, v26, -v20
	v_fma_f16 v5, v5, v23, -v19
	global_load_dwordx3 v[19:21], v27, s[20:21] offset:16
	v_sub_f16_e32 v6, v4, v6
	s_waitcnt vmcnt(0)
	v_mul_f16_sdwa v23, v17, v21 dst_sel:DWORD dst_unused:UNUSED_PAD src0_sel:DWORD src1_sel:WORD_1
	v_mul_f16_sdwa v25, v18, v20 dst_sel:DWORD dst_unused:UNUSED_PAD src0_sel:DWORD src1_sel:WORD_1
	v_fma_f16 v23, v9, v21, -v23
	v_fma_f16 v25, v8, v20, -v25
	v_mul_f16_sdwa v8, v8, v20 dst_sel:DWORD dst_unused:UNUSED_PAD src0_sel:DWORD src1_sel:WORD_1
	v_mul_f16_sdwa v9, v9, v21 dst_sel:DWORD dst_unused:UNUSED_PAD src0_sel:DWORD src1_sel:WORD_1
	;; [unrolled: 1-line block ×3, first 2 shown]
	v_fma_f16 v26, v7, v19, -v26
	v_mul_f16_sdwa v7, v7, v19 dst_sel:DWORD dst_unused:UNUSED_PAD src0_sel:DWORD src1_sel:WORD_1
	v_fma_f16 v8, v18, v20, v8
	v_fma_f16 v9, v17, v21, v9
	;; [unrolled: 1-line block ×3, first 2 shown]
	v_lshrrev_b32_e32 v16, 16, v4
	v_sub_f16_e32 v8, v10, v8
	v_sub_f16_e32 v17, v5, v26
	;; [unrolled: 1-line block ×8, first 2 shown]
	v_fma_f16 v11, v11, 2.0, -v9
	v_sub_f16_e32 v9, v17, v9
	v_fma_f16 v8, v10, 2.0, -v8
	v_add_f16_e32 v10, v7, v18
	v_fma_f16 v22, v29, 2.0, -v20
	v_add_f16_e32 v20, v19, v20
	v_fma_f16 v23, v24, 2.0, -v7
	v_fma_f16 v24, v9, s0, v21
	v_fma_f16 v4, v4, 2.0, -v6
	v_fma_f16 v5, v5, 2.0, -v17
	;; [unrolled: 1-line block ×3, first 2 shown]
	v_fma_f16 v24, v10, s1, v24
	v_fma_f16 v10, v10, s0, v20
	v_fma_f16 v6, v6, 2.0, -v21
	v_fma_f16 v17, v17, 2.0, -v9
	v_fma_f16 v16, v16, 2.0, -v19
	v_fma_f16 v19, v19, 2.0, -v20
	v_fma_f16 v9, v9, s0, v10
	v_fma_f16 v10, v17, s1, v6
	v_fma_f16 v18, v28, 2.0, -v18
	v_fma_f16 v10, v7, s1, v10
	v_fma_f16 v7, v7, s1, v19
	;; [unrolled: 1-line block ×3, first 2 shown]
	v_mov_b32_e32 v17, 40
	v_sub_f16_e32 v22, v4, v22
	v_sub_f16_e32 v11, v23, v11
	;; [unrolled: 1-line block ×4, first 2 shown]
	v_fma_f16 v23, v23, 2.0, -v11
	v_fma_f16 v5, v5, 2.0, -v18
	v_fma_f16 v4, v4, 2.0, -v22
	v_fma_f16 v16, v16, 2.0, -v8
	v_mul_u32_u24_sdwa v14, v14, v17 dst_sel:DWORD dst_unused:UNUSED_PAD src0_sel:BYTE_1 src1_sel:DWORD
	v_sub_f16_e32 v5, v4, v5
	v_sub_f16_e32 v23, v16, v23
	v_or_b32_sdwa v14, v14, v15 dst_sel:DWORD dst_unused:UNUSED_PAD src0_sel:DWORD src1_sel:BYTE_0
	v_sub_f16_e32 v11, v22, v11
	v_add_f16_e32 v18, v8, v18
	v_fma_f16 v6, v6, 2.0, -v10
	v_fma_f16 v19, v19, 2.0, -v7
	;; [unrolled: 1-line block ×4, first 2 shown]
	v_mul_u32_u24_e32 v14, 40, v14
	v_fma_f16 v21, v21, 2.0, -v24
	v_fma_f16 v20, v20, 2.0, -v9
	;; [unrolled: 1-line block ×4, first 2 shown]
	v_add3_u32 v14, 0, v14, v13
	v_pack_b32_f16 v4, v4, v16
	v_pack_b32_f16 v6, v6, v19
	ds_write2_b32 v14, v4, v6 offset1:50
	v_pack_b32_f16 v4, v22, v8
	v_pack_b32_f16 v6, v21, v20
	ds_write2_b32 v14, v4, v6 offset0:100 offset1:150
	v_pack_b32_f16 v4, v5, v23
	v_pack_b32_f16 v5, v10, v7
	ds_write2_b32 v14, v4, v5 offset0:200 offset1:250
	v_pack_b32_f16 v4, v11, v18
	v_pack_b32_f16 v5, v24, v9
	v_add_u32_e32 v6, 0x400, v14
	ds_write2_b32 v6, v4, v5 offset0:44 offset1:94
.LBB0_17:
	s_or_b64 exec, exec, s[2:3]
	v_mul_lo_u16_e32 v4, 13, v12
	v_lshrrev_b16_e32 v4, 9, v4
	v_mul_lo_u16_e32 v4, 40, v4
	v_sub_u16_e32 v4, v12, v4
	v_and_b32_e32 v4, 0xff, v4
	v_lshlrev_b32_e32 v5, 4, v4
	s_waitcnt lgkmcnt(0)
	s_barrier
	global_load_dwordx4 v[5:8], v5, s[20:21] offset:140
	v_mul_u32_u24_e32 v9, 40, v12
	v_add3_u32 v9, 0, v9, v13
	ds_read_b32 v10, v9
	ds_read_u16 v11, v9 offset:2
	ds_read_b32 v12, v9 offset:1600
	ds_read_b32 v13, v9 offset:3200
	;; [unrolled: 1-line block ×4, first 2 shown]
	s_movk_i32 s4, 0x3b9c
	s_waitcnt lgkmcnt(3)
	v_lshrrev_b32_e32 v15, 16, v12
	s_waitcnt lgkmcnt(2)
	v_lshrrev_b32_e32 v16, 16, v13
	;; [unrolled: 2-line block ×4, first 2 shown]
	s_mov_b32 s3, 0xbb9c
	s_movk_i32 s0, 0x38b4
	s_mov_b32 s2, 0xb8b4
	s_movk_i32 s1, 0x34f2
	s_waitcnt vmcnt(0)
	v_mul_f16_sdwa v19, v5, v15 dst_sel:DWORD dst_unused:UNUSED_PAD src0_sel:WORD_1 src1_sel:DWORD
	v_mul_f16_sdwa v20, v5, v12 dst_sel:DWORD dst_unused:UNUSED_PAD src0_sel:WORD_1 src1_sel:DWORD
	;; [unrolled: 1-line block ×8, first 2 shown]
	v_fma_f16 v12, v5, v12, -v19
	v_fma_f16 v5, v5, v15, v20
	v_fma_f16 v15, v6, v13, -v21
	v_fma_f16 v6, v6, v16, v22
	;; [unrolled: 2-line block ×4, first 2 shown]
	v_add_f16_e32 v16, v12, v10
	v_add_f16_e32 v17, v15, v14
	v_sub_f16_e32 v20, v12, v15
	v_sub_f16_e32 v21, v9, v14
	v_add_f16_e32 v22, v12, v9
	v_add_f16_e32 v25, v11, v5
	;; [unrolled: 1-line block ×3, first 2 shown]
	v_sub_f16_e32 v18, v5, v8
	v_sub_f16_e32 v19, v6, v7
	;; [unrolled: 1-line block ×7, first 2 shown]
	v_add_f16_e32 v29, v5, v8
	v_sub_f16_e32 v30, v6, v5
	v_add_f16_e32 v5, v16, v15
	v_fma_f16 v16, v17, -0.5, v10
	v_add_f16_e32 v17, v20, v21
	v_fma_f16 v10, v22, -0.5, v10
	;; [unrolled: 2-line block ×3, first 2 shown]
	v_sub_f16_e32 v27, v15, v14
	v_sub_f16_e32 v15, v7, v8
	v_add_f16_e32 v20, v23, v24
	v_add_f16_e32 v22, v12, v28
	;; [unrolled: 1-line block ×3, first 2 shown]
	v_fma_f16 v12, v18, s4, v16
	v_fma_f16 v16, v18, s3, v16
	;; [unrolled: 1-line block ×4, first 2 shown]
	v_add_f16_e32 v6, v6, v7
	v_fma_f16 v7, v13, s3, v21
	v_fma_f16 v21, v13, s4, v21
	v_fma_f16 v23, v29, -0.5, v11
	v_add_f16_e32 v11, v5, v9
	v_fma_f16 v5, v19, s0, v12
	v_fma_f16 v16, v19, s2, v16
	;; [unrolled: 1-line block ×7, first 2 shown]
	v_add_f16_e32 v12, v6, v8
	v_fma_f16 v9, v17, s1, v5
	v_fma_f16 v6, v17, s1, v16
	;; [unrolled: 1-line block ×6, first 2 shown]
	v_add_u32_e32 v21, 40, v4
	v_add_u32_e32 v22, 0x50, v4
	;; [unrolled: 1-line block ×3, first 2 shown]
	v_mul_lo_u32 v16, v3, v4
	v_mul_lo_u32 v21, v3, v21
	;; [unrolled: 1-line block ×4, first 2 shown]
	v_add_u32_e32 v28, 0xa0, v4
	v_mul_lo_u32 v3, v3, v28
	v_mov_b32_e32 v18, 2
	v_fma_f16 v8, v20, s1, v19
	v_lshlrev_b32_sdwa v19, v18, v16 dst_sel:DWORD dst_unused:UNUSED_PAD src0_sel:DWORD src1_sel:BYTE_0
	v_lshlrev_b32_sdwa v20, v18, v16 dst_sel:DWORD dst_unused:UNUSED_PAD src0_sel:DWORD src1_sel:BYTE_1
	v_lshlrev_b32_sdwa v16, v18, v16 dst_sel:DWORD dst_unused:UNUSED_PAD src0_sel:DWORD src1_sel:BYTE_2
	v_lshlrev_b32_sdwa v23, v18, v21 dst_sel:DWORD dst_unused:UNUSED_PAD src0_sel:DWORD src1_sel:BYTE_0
	v_lshlrev_b32_sdwa v24, v18, v21 dst_sel:DWORD dst_unused:UNUSED_PAD src0_sel:DWORD src1_sel:BYTE_1
	v_lshlrev_b32_sdwa v21, v18, v21 dst_sel:DWORD dst_unused:UNUSED_PAD src0_sel:DWORD src1_sel:BYTE_2
	;; [unrolled: 3-line block ×3, first 2 shown]
	v_lshlrev_b32_sdwa v28, v18, v27 dst_sel:DWORD dst_unused:UNUSED_PAD src0_sel:DWORD src1_sel:BYTE_0
	v_add_f16_e32 v15, v30, v15
	v_lshlrev_b32_sdwa v29, v18, v27 dst_sel:DWORD dst_unused:UNUSED_PAD src0_sel:DWORD src1_sel:BYTE_1
	v_lshlrev_b32_sdwa v27, v18, v27 dst_sel:DWORD dst_unused:UNUSED_PAD src0_sel:DWORD src1_sel:BYTE_2
	v_lshlrev_b32_sdwa v30, v18, v3 dst_sel:DWORD dst_unused:UNUSED_PAD src0_sel:DWORD src1_sel:BYTE_0
	v_lshlrev_b32_sdwa v31, v18, v3 dst_sel:DWORD dst_unused:UNUSED_PAD src0_sel:DWORD src1_sel:BYTE_1
	v_lshlrev_b32_sdwa v3, v18, v3 dst_sel:DWORD dst_unused:UNUSED_PAD src0_sel:DWORD src1_sel:BYTE_2
	global_load_dword v18, v19, s[16:17]
	global_load_dword v32, v20, s[16:17] offset:1024
	global_load_dword v33, v16, s[16:17] offset:2048
	global_load_dword v34, v23, s[16:17]
	global_load_dword v35, v24, s[16:17] offset:1024
                                        ; kill: killed $vgpr23
                                        ; kill: killed $vgpr20
                                        ; kill: killed $vgpr16
                                        ; kill: killed $vgpr19
                                        ; kill: killed $vgpr24
	s_nop 0
	global_load_dword v16, v21, s[16:17] offset:2048
	global_load_dword v19, v25, s[16:17]
	global_load_dword v20, v26, s[16:17] offset:1024
	global_load_dword v23, v22, s[16:17] offset:2048
	global_load_dword v24, v28, s[16:17]
                                        ; kill: killed $vgpr22
                                        ; kill: killed $vgpr21
                                        ; kill: killed $vgpr28
                                        ; kill: killed $vgpr25
                                        ; kill: killed $vgpr26
	s_nop 0
	global_load_dword v21, v29, s[16:17] offset:1024
	global_load_dword v22, v27, s[16:17] offset:2048
	global_load_dword v25, v30, s[16:17]
	global_load_dword v26, v31, s[16:17] offset:1024
	global_load_dword v28, v3, s[16:17] offset:2048
	v_fma_f16 v3, v13, s2, v14
	v_fma_f16 v13, v13, s0, v17
	;; [unrolled: 1-line block ×4, first 2 shown]
	s_movk_i32 s0, 0xa4
	v_mul_u32_u24_sdwa v0, v0, s0 dst_sel:DWORD dst_unused:UNUSED_PAD src0_sel:WORD_0 src1_sel:DWORD
	s_movk_i32 s0, 0xc8
	v_mul_lo_u16_sdwa v0, v0, s0 dst_sel:DWORD dst_unused:UNUSED_PAD src0_sel:WORD_1 src1_sel:DWORD
	v_add_u32_e32 v0, v4, v0
	v_mul_lo_u32 v4, s12, v0
	v_readfirstlane_b32 s0, v2
	v_add_u32_e32 v2, 40, v0
	v_mul_lo_u32 v2, s12, v2
	v_add_lshl_u32 v4, v1, v4, 2
	v_cndmask_b32_e32 v4, -1, v4, vcc
	v_add_lshl_u32 v2, v1, v2, 2
	v_cndmask_b32_e32 v2, -1, v2, vcc
	s_waitcnt vmcnt(14)
	v_lshrrev_b32_e32 v14, 16, v18
	s_waitcnt vmcnt(13)
	v_mul_f16_sdwa v17, v18, v32 dst_sel:DWORD dst_unused:UNUSED_PAD src0_sel:DWORD src1_sel:WORD_1
	v_mul_f16_sdwa v15, v14, v32 dst_sel:DWORD dst_unused:UNUSED_PAD src0_sel:DWORD src1_sel:WORD_1
	v_fma_f16 v14, v14, v32, v17
	v_fma_f16 v15, v18, v32, -v15
	s_waitcnt vmcnt(12)
	v_mul_f16_sdwa v17, v14, v33 dst_sel:DWORD dst_unused:UNUSED_PAD src0_sel:DWORD src1_sel:WORD_1
	v_fma_f16 v17, v33, v15, -v17
	v_mul_f16_sdwa v15, v15, v33 dst_sel:DWORD dst_unused:UNUSED_PAD src0_sel:DWORD src1_sel:WORD_1
	v_fma_f16 v14, v33, v14, v15
	v_mul_f16_e32 v15, v12, v14
	v_fma_f16 v15, v11, v17, -v15
	v_mul_f16_e32 v11, v11, v14
	v_fma_f16 v11, v12, v17, v11
	s_waitcnt vmcnt(11)
	v_lshrrev_b32_e32 v12, 16, v34
	s_waitcnt vmcnt(10)
	v_mul_f16_sdwa v17, v34, v35 dst_sel:DWORD dst_unused:UNUSED_PAD src0_sel:DWORD src1_sel:WORD_1
	v_mul_f16_sdwa v14, v12, v35 dst_sel:DWORD dst_unused:UNUSED_PAD src0_sel:DWORD src1_sel:WORD_1
	v_fma_f16 v12, v12, v35, v17
	v_fma_f16 v14, v34, v35, -v14
	s_waitcnt vmcnt(9)
	v_mul_f16_sdwa v17, v12, v16 dst_sel:DWORD dst_unused:UNUSED_PAD src0_sel:DWORD src1_sel:WORD_1
	v_fma_f16 v17, v16, v14, -v17
	v_mul_f16_sdwa v14, v14, v16 dst_sel:DWORD dst_unused:UNUSED_PAD src0_sel:DWORD src1_sel:WORD_1
	v_fma_f16 v12, v16, v12, v14
	v_mul_f16_e32 v14, v10, v12
	v_fma_f16 v14, v9, v17, -v14
	v_mul_f16_e32 v9, v9, v12
	v_fma_f16 v9, v10, v17, v9
	;; [unrolled: 16-line block ×5, first 2 shown]
	v_lshlrev_b32_e32 v6, 16, v11
	v_or_b32_sdwa v6, v6, v15 dst_sel:DWORD dst_unused:UNUSED_PAD src0_sel:DWORD src1_sel:WORD_0
	buffer_store_dword v6, v4, s[8:11], s0 offen
	v_lshlrev_b32_e32 v4, 16, v9
	v_add_u32_e32 v6, 0x50, v0
	v_or_b32_sdwa v4, v4, v14 dst_sel:DWORD dst_unused:UNUSED_PAD src0_sel:DWORD src1_sel:WORD_0
	v_mul_lo_u32 v6, s12, v6
	buffer_store_dword v4, v2, s[8:11], s0 offen
	v_add_u32_e32 v4, 0x78, v0
	v_mul_lo_u32 v4, s12, v4
	v_add_u32_e32 v0, 0xa0, v0
	v_lshlrev_b32_e32 v2, 16, v3
	v_add_lshl_u32 v3, v1, v6, 2
	v_mul_lo_u32 v0, s12, v0
	v_or_b32_sdwa v2, v2, v12 dst_sel:DWORD dst_unused:UNUSED_PAD src0_sel:DWORD src1_sel:WORD_0
	v_cndmask_b32_e32 v3, -1, v3, vcc
	buffer_store_dword v2, v3, s[8:11], s0 offen
	v_lshlrev_b32_e32 v2, 16, v7
	v_add_lshl_u32 v3, v1, v4, 2
	v_or_b32_sdwa v2, v2, v10 dst_sel:DWORD dst_unused:UNUSED_PAD src0_sel:DWORD src1_sel:WORD_0
	v_cndmask_b32_e32 v3, -1, v3, vcc
	buffer_store_dword v2, v3, s[8:11], s0 offen
	v_lshlrev_b32_e32 v2, 16, v5
	v_add_lshl_u32 v0, v1, v0, 2
	v_or_b32_sdwa v2, v2, v13 dst_sel:DWORD dst_unused:UNUSED_PAD src0_sel:DWORD src1_sel:WORD_0
	v_cndmask_b32_e32 v0, -1, v0, vcc
	buffer_store_dword v2, v0, s[8:11], s0 offen
	s_endpgm
	.section	.rodata,"a",@progbits
	.p2align	6, 0x0
	.amdhsa_kernel fft_rtc_fwd_len200_factors_5_8_5_wgs_400_tpt_40_half_ip_CI_sbcc_twdbase8_3step_dirReg_intrinsicReadWrite
		.amdhsa_group_segment_fixed_size 0
		.amdhsa_private_segment_fixed_size 0
		.amdhsa_kernarg_size 96
		.amdhsa_user_sgpr_count 6
		.amdhsa_user_sgpr_private_segment_buffer 1
		.amdhsa_user_sgpr_dispatch_ptr 0
		.amdhsa_user_sgpr_queue_ptr 0
		.amdhsa_user_sgpr_kernarg_segment_ptr 1
		.amdhsa_user_sgpr_dispatch_id 0
		.amdhsa_user_sgpr_flat_scratch_init 0
		.amdhsa_user_sgpr_private_segment_size 0
		.amdhsa_uses_dynamic_stack 0
		.amdhsa_system_sgpr_private_segment_wavefront_offset 0
		.amdhsa_system_sgpr_workgroup_id_x 1
		.amdhsa_system_sgpr_workgroup_id_y 0
		.amdhsa_system_sgpr_workgroup_id_z 0
		.amdhsa_system_sgpr_workgroup_info 0
		.amdhsa_system_vgpr_workitem_id 0
		.amdhsa_next_free_vgpr 36
		.amdhsa_next_free_sgpr 43
		.amdhsa_reserve_vcc 1
		.amdhsa_reserve_flat_scratch 0
		.amdhsa_float_round_mode_32 0
		.amdhsa_float_round_mode_16_64 0
		.amdhsa_float_denorm_mode_32 3
		.amdhsa_float_denorm_mode_16_64 3
		.amdhsa_dx10_clamp 1
		.amdhsa_ieee_mode 1
		.amdhsa_fp16_overflow 0
		.amdhsa_exception_fp_ieee_invalid_op 0
		.amdhsa_exception_fp_denorm_src 0
		.amdhsa_exception_fp_ieee_div_zero 0
		.amdhsa_exception_fp_ieee_overflow 0
		.amdhsa_exception_fp_ieee_underflow 0
		.amdhsa_exception_fp_ieee_inexact 0
		.amdhsa_exception_int_div_zero 0
	.end_amdhsa_kernel
	.text
.Lfunc_end0:
	.size	fft_rtc_fwd_len200_factors_5_8_5_wgs_400_tpt_40_half_ip_CI_sbcc_twdbase8_3step_dirReg_intrinsicReadWrite, .Lfunc_end0-fft_rtc_fwd_len200_factors_5_8_5_wgs_400_tpt_40_half_ip_CI_sbcc_twdbase8_3step_dirReg_intrinsicReadWrite
                                        ; -- End function
	.section	.AMDGPU.csdata,"",@progbits
; Kernel info:
; codeLenInByte = 4944
; NumSgprs: 47
; NumVgprs: 36
; ScratchSize: 0
; MemoryBound: 0
; FloatMode: 240
; IeeeMode: 1
; LDSByteSize: 0 bytes/workgroup (compile time only)
; SGPRBlocks: 5
; VGPRBlocks: 8
; NumSGPRsForWavesPerEU: 47
; NumVGPRsForWavesPerEU: 36
; Occupancy: 7
; WaveLimiterHint : 0
; COMPUTE_PGM_RSRC2:SCRATCH_EN: 0
; COMPUTE_PGM_RSRC2:USER_SGPR: 6
; COMPUTE_PGM_RSRC2:TRAP_HANDLER: 0
; COMPUTE_PGM_RSRC2:TGID_X_EN: 1
; COMPUTE_PGM_RSRC2:TGID_Y_EN: 0
; COMPUTE_PGM_RSRC2:TGID_Z_EN: 0
; COMPUTE_PGM_RSRC2:TIDIG_COMP_CNT: 0
	.type	__hip_cuid_c4a0fed73a8cb322,@object ; @__hip_cuid_c4a0fed73a8cb322
	.section	.bss,"aw",@nobits
	.globl	__hip_cuid_c4a0fed73a8cb322
__hip_cuid_c4a0fed73a8cb322:
	.byte	0                               ; 0x0
	.size	__hip_cuid_c4a0fed73a8cb322, 1

	.ident	"AMD clang version 19.0.0git (https://github.com/RadeonOpenCompute/llvm-project roc-6.4.0 25133 c7fe45cf4b819c5991fe208aaa96edf142730f1d)"
	.section	".note.GNU-stack","",@progbits
	.addrsig
	.addrsig_sym __hip_cuid_c4a0fed73a8cb322
	.amdgpu_metadata
---
amdhsa.kernels:
  - .args:
      - .actual_access:  read_only
        .address_space:  global
        .offset:         0
        .size:           8
        .value_kind:     global_buffer
      - .address_space:  global
        .offset:         8
        .size:           8
        .value_kind:     global_buffer
      - .offset:         16
        .size:           8
        .value_kind:     by_value
      - .actual_access:  read_only
        .address_space:  global
        .offset:         24
        .size:           8
        .value_kind:     global_buffer
      - .actual_access:  read_only
        .address_space:  global
        .offset:         32
        .size:           8
        .value_kind:     global_buffer
      - .offset:         40
        .size:           8
        .value_kind:     by_value
      - .actual_access:  read_only
        .address_space:  global
        .offset:         48
        .size:           8
        .value_kind:     global_buffer
      - .actual_access:  read_only
        .address_space:  global
        .offset:         56
        .size:           8
        .value_kind:     global_buffer
      - .offset:         64
        .size:           4
        .value_kind:     by_value
      - .actual_access:  read_only
        .address_space:  global
        .offset:         72
        .size:           8
        .value_kind:     global_buffer
      - .actual_access:  read_only
        .address_space:  global
        .offset:         80
        .size:           8
        .value_kind:     global_buffer
      - .address_space:  global
        .offset:         88
        .size:           8
        .value_kind:     global_buffer
    .group_segment_fixed_size: 0
    .kernarg_segment_align: 8
    .kernarg_segment_size: 96
    .language:       OpenCL C
    .language_version:
      - 2
      - 0
    .max_flat_workgroup_size: 400
    .name:           fft_rtc_fwd_len200_factors_5_8_5_wgs_400_tpt_40_half_ip_CI_sbcc_twdbase8_3step_dirReg_intrinsicReadWrite
    .private_segment_fixed_size: 0
    .sgpr_count:     47
    .sgpr_spill_count: 0
    .symbol:         fft_rtc_fwd_len200_factors_5_8_5_wgs_400_tpt_40_half_ip_CI_sbcc_twdbase8_3step_dirReg_intrinsicReadWrite.kd
    .uniform_work_group_size: 1
    .uses_dynamic_stack: false
    .vgpr_count:     36
    .vgpr_spill_count: 0
    .wavefront_size: 64
amdhsa.target:   amdgcn-amd-amdhsa--gfx906
amdhsa.version:
  - 1
  - 2
...

	.end_amdgpu_metadata
